;; amdgpu-corpus repo=ROCm/rocSPARSE kind=compiled arch=gfx1100 opt=O3
	.text
	.amdgcn_target "amdgcn-amd-amdhsa--gfx1100"
	.amdhsa_code_object_version 6
	.section	.text._ZN9rocsparseL14coo2csr_kernelILj512EiiEEvT1_T0_PKS1_PS2_21rocsparse_index_base_,"axG",@progbits,_ZN9rocsparseL14coo2csr_kernelILj512EiiEEvT1_T0_PKS1_PS2_21rocsparse_index_base_,comdat
	.globl	_ZN9rocsparseL14coo2csr_kernelILj512EiiEEvT1_T0_PKS1_PS2_21rocsparse_index_base_ ; -- Begin function _ZN9rocsparseL14coo2csr_kernelILj512EiiEEvT1_T0_PKS1_PS2_21rocsparse_index_base_
	.p2align	8
	.type	_ZN9rocsparseL14coo2csr_kernelILj512EiiEEvT1_T0_PKS1_PS2_21rocsparse_index_base_,@function
_ZN9rocsparseL14coo2csr_kernelILj512EiiEEvT1_T0_PKS1_PS2_21rocsparse_index_base_: ; @_ZN9rocsparseL14coo2csr_kernelILj512EiiEEvT1_T0_PKS1_PS2_21rocsparse_index_base_
; %bb.0:
	s_load_b64 s[2:3], s[0:1], 0x0
	v_lshl_or_b32 v0, s15, 9, v0
	s_mov_b32 s4, exec_lo
	s_waitcnt lgkmcnt(0)
	s_delay_alu instid0(VALU_DEP_1)
	v_cmpx_gt_i32_e64 s2, v0
	s_cbranch_execz .LBB0_11
; %bb.1:
	s_clause 0x1
	s_load_b128 s[4:7], s[0:1], 0x8
	s_load_b32 s0, s[0:1], 0x18
	s_mov_b32 s1, exec_lo
                                        ; implicit-def: $vgpr2
	v_cmpx_ne_u32_e32 0, v0
	s_xor_b32 s1, exec_lo, s1
	s_cbranch_execz .LBB0_8
; %bb.2:
	s_cmp_lt_i32 s3, 1
	s_cbranch_scc1 .LBB0_6
; %bb.3:
	s_waitcnt lgkmcnt(0)
	v_dual_mov_b32 v1, 0 :: v_dual_add_nc_u32 v2, s0, v0
	v_mov_b32_e32 v3, s3
	s_mov_b32 s8, 0
	.p2align	6
.LBB0_4:                                ; =>This Inner Loop Header: Depth=1
	s_delay_alu instid0(VALU_DEP_1) | instskip(NEXT) | instid1(VALU_DEP_1)
	v_sub_nc_u32_e32 v4, v3, v1
	v_ashrrev_i32_e32 v4, 1, v4
	s_delay_alu instid0(VALU_DEP_1) | instskip(NEXT) | instid1(VALU_DEP_1)
	v_add_nc_u32_e32 v4, v4, v1
	v_ashrrev_i32_e32 v5, 31, v4
	s_delay_alu instid0(VALU_DEP_1) | instskip(NEXT) | instid1(VALU_DEP_1)
	v_lshlrev_b64 v[5:6], 2, v[4:5]
	v_add_co_u32 v5, vcc_lo, s4, v5
	s_delay_alu instid0(VALU_DEP_2) | instskip(SKIP_4) | instid1(VALU_DEP_1)
	v_add_co_ci_u32_e32 v6, vcc_lo, s5, v6, vcc_lo
	global_load_b32 v5, v[5:6], off
	s_waitcnt vmcnt(0)
	v_cmp_lt_i32_e32 vcc_lo, v5, v2
	v_add_nc_u32_e32 v6, 1, v4
	v_cndmask_b32_e32 v1, v1, v6, vcc_lo
	v_cndmask_b32_e32 v3, v4, v3, vcc_lo
	s_delay_alu instid0(VALU_DEP_1) | instskip(SKIP_1) | instid1(SALU_CYCLE_1)
	v_cmp_ge_i32_e32 vcc_lo, v1, v3
	s_or_b32 s8, vcc_lo, s8
	s_and_not1_b32 exec_lo, exec_lo, s8
	s_cbranch_execnz .LBB0_4
; %bb.5:
	s_or_b32 exec_lo, exec_lo, s8
	s_branch .LBB0_7
.LBB0_6:
	v_mov_b32_e32 v1, 0
.LBB0_7:
	s_waitcnt lgkmcnt(0)
	s_delay_alu instid0(VALU_DEP_1)
	v_add_nc_u32_e32 v2, s0, v1
.LBB0_8:
	s_and_not1_saveexec_b32 s1, s1
	s_cbranch_execz .LBB0_10
; %bb.9:
	s_waitcnt lgkmcnt(0)
	v_mov_b32_e32 v3, s0
	s_add_i32 s0, s0, s3
	v_dual_mov_b32 v1, 0 :: v_dual_mov_b32 v0, s2
	v_mov_b32_e32 v2, s0
	global_store_b32 v1, v3, s[6:7]
.LBB0_10:
	s_or_b32 exec_lo, exec_lo, s1
	v_ashrrev_i32_e32 v1, 31, v0
	s_delay_alu instid0(VALU_DEP_1) | instskip(SKIP_1) | instid1(VALU_DEP_1)
	v_lshlrev_b64 v[0:1], 2, v[0:1]
	s_waitcnt lgkmcnt(0)
	v_add_co_u32 v0, vcc_lo, s6, v0
	s_delay_alu instid0(VALU_DEP_2)
	v_add_co_ci_u32_e32 v1, vcc_lo, s7, v1, vcc_lo
	global_store_b32 v[0:1], v2, off
.LBB0_11:
	s_nop 0
	s_sendmsg sendmsg(MSG_DEALLOC_VGPRS)
	s_endpgm
	.section	.rodata,"a",@progbits
	.p2align	6, 0x0
	.amdhsa_kernel _ZN9rocsparseL14coo2csr_kernelILj512EiiEEvT1_T0_PKS1_PS2_21rocsparse_index_base_
		.amdhsa_group_segment_fixed_size 0
		.amdhsa_private_segment_fixed_size 0
		.amdhsa_kernarg_size 28
		.amdhsa_user_sgpr_count 15
		.amdhsa_user_sgpr_dispatch_ptr 0
		.amdhsa_user_sgpr_queue_ptr 0
		.amdhsa_user_sgpr_kernarg_segment_ptr 1
		.amdhsa_user_sgpr_dispatch_id 0
		.amdhsa_user_sgpr_private_segment_size 0
		.amdhsa_wavefront_size32 1
		.amdhsa_uses_dynamic_stack 0
		.amdhsa_enable_private_segment 0
		.amdhsa_system_sgpr_workgroup_id_x 1
		.amdhsa_system_sgpr_workgroup_id_y 0
		.amdhsa_system_sgpr_workgroup_id_z 0
		.amdhsa_system_sgpr_workgroup_info 0
		.amdhsa_system_vgpr_workitem_id 0
		.amdhsa_next_free_vgpr 7
		.amdhsa_next_free_sgpr 16
		.amdhsa_reserve_vcc 1
		.amdhsa_float_round_mode_32 0
		.amdhsa_float_round_mode_16_64 0
		.amdhsa_float_denorm_mode_32 3
		.amdhsa_float_denorm_mode_16_64 3
		.amdhsa_dx10_clamp 1
		.amdhsa_ieee_mode 1
		.amdhsa_fp16_overflow 0
		.amdhsa_workgroup_processor_mode 1
		.amdhsa_memory_ordered 1
		.amdhsa_forward_progress 0
		.amdhsa_shared_vgpr_count 0
		.amdhsa_exception_fp_ieee_invalid_op 0
		.amdhsa_exception_fp_denorm_src 0
		.amdhsa_exception_fp_ieee_div_zero 0
		.amdhsa_exception_fp_ieee_overflow 0
		.amdhsa_exception_fp_ieee_underflow 0
		.amdhsa_exception_fp_ieee_inexact 0
		.amdhsa_exception_int_div_zero 0
	.end_amdhsa_kernel
	.section	.text._ZN9rocsparseL14coo2csr_kernelILj512EiiEEvT1_T0_PKS1_PS2_21rocsparse_index_base_,"axG",@progbits,_ZN9rocsparseL14coo2csr_kernelILj512EiiEEvT1_T0_PKS1_PS2_21rocsparse_index_base_,comdat
.Lfunc_end0:
	.size	_ZN9rocsparseL14coo2csr_kernelILj512EiiEEvT1_T0_PKS1_PS2_21rocsparse_index_base_, .Lfunc_end0-_ZN9rocsparseL14coo2csr_kernelILj512EiiEEvT1_T0_PKS1_PS2_21rocsparse_index_base_
                                        ; -- End function
	.section	.AMDGPU.csdata,"",@progbits
; Kernel info:
; codeLenInByte = 328
; NumSgprs: 18
; NumVgprs: 7
; ScratchSize: 0
; MemoryBound: 0
; FloatMode: 240
; IeeeMode: 1
; LDSByteSize: 0 bytes/workgroup (compile time only)
; SGPRBlocks: 2
; VGPRBlocks: 0
; NumSGPRsForWavesPerEU: 18
; NumVGPRsForWavesPerEU: 7
; Occupancy: 16
; WaveLimiterHint : 0
; COMPUTE_PGM_RSRC2:SCRATCH_EN: 0
; COMPUTE_PGM_RSRC2:USER_SGPR: 15
; COMPUTE_PGM_RSRC2:TRAP_HANDLER: 0
; COMPUTE_PGM_RSRC2:TGID_X_EN: 1
; COMPUTE_PGM_RSRC2:TGID_Y_EN: 0
; COMPUTE_PGM_RSRC2:TGID_Z_EN: 0
; COMPUTE_PGM_RSRC2:TIDIG_COMP_CNT: 0
	.section	.text._ZN9rocsparseL14coo2csr_kernelILj512EliEEvT1_T0_PKS1_PS2_21rocsparse_index_base_,"axG",@progbits,_ZN9rocsparseL14coo2csr_kernelILj512EliEEvT1_T0_PKS1_PS2_21rocsparse_index_base_,comdat
	.globl	_ZN9rocsparseL14coo2csr_kernelILj512EliEEvT1_T0_PKS1_PS2_21rocsparse_index_base_ ; -- Begin function _ZN9rocsparseL14coo2csr_kernelILj512EliEEvT1_T0_PKS1_PS2_21rocsparse_index_base_
	.p2align	8
	.type	_ZN9rocsparseL14coo2csr_kernelILj512EliEEvT1_T0_PKS1_PS2_21rocsparse_index_base_,@function
_ZN9rocsparseL14coo2csr_kernelILj512EliEEvT1_T0_PKS1_PS2_21rocsparse_index_base_: ; @_ZN9rocsparseL14coo2csr_kernelILj512EliEEvT1_T0_PKS1_PS2_21rocsparse_index_base_
; %bb.0:
	s_load_b32 s8, s[0:1], 0x0
	v_lshl_or_b32 v0, s15, 9, v0
	s_mov_b32 s2, exec_lo
	s_waitcnt lgkmcnt(0)
	s_delay_alu instid0(VALU_DEP_1)
	v_cmpx_gt_i32_e64 s8, v0
	s_cbranch_execz .LBB1_11
; %bb.1:
	s_clause 0x2
	s_load_b128 s[4:7], s[0:1], 0x8
	s_load_b64 s[2:3], s[0:1], 0x18
	s_load_b32 s0, s[0:1], 0x20
	s_mov_b32 s1, exec_lo
                                        ; implicit-def: $vgpr3_vgpr4
	v_cmpx_ne_u32_e32 0, v0
	s_xor_b32 s1, exec_lo, s1
	s_cbranch_execz .LBB1_8
; %bb.2:
	s_waitcnt lgkmcnt(0)
	v_cmp_lt_i64_e64 s9, s[4:5], 1
	s_delay_alu instid0(VALU_DEP_1)
	s_and_b32 vcc_lo, exec_lo, s9
	s_cbranch_vccnz .LBB1_6
; %bb.3:
	v_mov_b32_e32 v1, 0
	v_dual_mov_b32 v3, s4 :: v_dual_mov_b32 v4, s5
	v_dual_mov_b32 v2, 0 :: v_dual_add_nc_u32 v5, s0, v0
	s_mov_b32 s9, 0
	.p2align	6
.LBB1_4:                                ; =>This Inner Loop Header: Depth=1
	s_delay_alu instid0(VALU_DEP_2) | instskip(NEXT) | instid1(VALU_DEP_2)
	v_sub_co_u32 v6, vcc_lo, v3, v1
	v_sub_co_ci_u32_e32 v7, vcc_lo, v4, v2, vcc_lo
	s_delay_alu instid0(VALU_DEP_1) | instskip(NEXT) | instid1(VALU_DEP_1)
	v_ashrrev_i64 v[6:7], 1, v[6:7]
	v_add_co_u32 v6, vcc_lo, v6, v1
	s_delay_alu instid0(VALU_DEP_2) | instskip(NEXT) | instid1(VALU_DEP_1)
	v_add_co_ci_u32_e32 v7, vcc_lo, v7, v2, vcc_lo
	v_lshlrev_b64 v[8:9], 2, v[6:7]
	s_delay_alu instid0(VALU_DEP_1) | instskip(NEXT) | instid1(VALU_DEP_2)
	v_add_co_u32 v8, vcc_lo, s6, v8
	v_add_co_ci_u32_e32 v9, vcc_lo, s7, v9, vcc_lo
	global_load_b32 v8, v[8:9], off
	v_add_co_u32 v9, vcc_lo, v6, 1
	v_add_co_ci_u32_e32 v10, vcc_lo, 0, v7, vcc_lo
	s_waitcnt vmcnt(0)
	v_cmp_lt_i32_e32 vcc_lo, v8, v5
	v_dual_cndmask_b32 v4, v7, v4 :: v_dual_cndmask_b32 v3, v6, v3
	s_delay_alu instid0(VALU_DEP_3) | instskip(NEXT) | instid1(VALU_DEP_1)
	v_dual_cndmask_b32 v2, v2, v10 :: v_dual_cndmask_b32 v1, v1, v9
	v_cmp_ge_i64_e32 vcc_lo, v[1:2], v[3:4]
	s_or_b32 s9, vcc_lo, s9
	s_delay_alu instid0(SALU_CYCLE_1)
	s_and_not1_b32 exec_lo, exec_lo, s9
	s_cbranch_execnz .LBB1_4
; %bb.5:
	s_or_b32 exec_lo, exec_lo, s9
	s_branch .LBB1_7
.LBB1_6:
	v_mov_b32_e32 v1, 0
	v_mov_b32_e32 v2, 0
.LBB1_7:
	s_delay_alu instid0(VALU_DEP_2) | instskip(NEXT) | instid1(VALU_DEP_2)
	v_add_co_u32 v3, vcc_lo, v1, s0
	v_add_co_ci_u32_e32 v4, vcc_lo, 0, v2, vcc_lo
.LBB1_8:
	s_waitcnt lgkmcnt(0)
	s_and_not1_saveexec_b32 s6, s1
	s_cbranch_execz .LBB1_10
; %bb.9:
	s_mov_b32 s1, 0
	s_delay_alu instid0(SALU_CYCLE_1) | instskip(SKIP_3) | instid1(SALU_CYCLE_1)
	v_dual_mov_b32 v5, 0 :: v_dual_mov_b32 v2, s1
	v_dual_mov_b32 v1, s0 :: v_dual_mov_b32 v0, s8
	s_add_u32 s0, s0, s4
	s_addc_u32 s1, 0, s5
	v_dual_mov_b32 v4, s1 :: v_dual_mov_b32 v3, s0
	global_store_b64 v5, v[1:2], s[2:3]
.LBB1_10:
	s_or_b32 exec_lo, exec_lo, s6
	v_ashrrev_i32_e32 v1, 31, v0
	s_delay_alu instid0(VALU_DEP_1) | instskip(NEXT) | instid1(VALU_DEP_1)
	v_lshlrev_b64 v[0:1], 3, v[0:1]
	v_add_co_u32 v0, vcc_lo, s2, v0
	s_delay_alu instid0(VALU_DEP_2)
	v_add_co_ci_u32_e32 v1, vcc_lo, s3, v1, vcc_lo
	global_store_b64 v[0:1], v[3:4], off
.LBB1_11:
	s_nop 0
	s_sendmsg sendmsg(MSG_DEALLOC_VGPRS)
	s_endpgm
	.section	.rodata,"a",@progbits
	.p2align	6, 0x0
	.amdhsa_kernel _ZN9rocsparseL14coo2csr_kernelILj512EliEEvT1_T0_PKS1_PS2_21rocsparse_index_base_
		.amdhsa_group_segment_fixed_size 0
		.amdhsa_private_segment_fixed_size 0
		.amdhsa_kernarg_size 36
		.amdhsa_user_sgpr_count 15
		.amdhsa_user_sgpr_dispatch_ptr 0
		.amdhsa_user_sgpr_queue_ptr 0
		.amdhsa_user_sgpr_kernarg_segment_ptr 1
		.amdhsa_user_sgpr_dispatch_id 0
		.amdhsa_user_sgpr_private_segment_size 0
		.amdhsa_wavefront_size32 1
		.amdhsa_uses_dynamic_stack 0
		.amdhsa_enable_private_segment 0
		.amdhsa_system_sgpr_workgroup_id_x 1
		.amdhsa_system_sgpr_workgroup_id_y 0
		.amdhsa_system_sgpr_workgroup_id_z 0
		.amdhsa_system_sgpr_workgroup_info 0
		.amdhsa_system_vgpr_workitem_id 0
		.amdhsa_next_free_vgpr 11
		.amdhsa_next_free_sgpr 16
		.amdhsa_reserve_vcc 1
		.amdhsa_float_round_mode_32 0
		.amdhsa_float_round_mode_16_64 0
		.amdhsa_float_denorm_mode_32 3
		.amdhsa_float_denorm_mode_16_64 3
		.amdhsa_dx10_clamp 1
		.amdhsa_ieee_mode 1
		.amdhsa_fp16_overflow 0
		.amdhsa_workgroup_processor_mode 1
		.amdhsa_memory_ordered 1
		.amdhsa_forward_progress 0
		.amdhsa_shared_vgpr_count 0
		.amdhsa_exception_fp_ieee_invalid_op 0
		.amdhsa_exception_fp_denorm_src 0
		.amdhsa_exception_fp_ieee_div_zero 0
		.amdhsa_exception_fp_ieee_overflow 0
		.amdhsa_exception_fp_ieee_underflow 0
		.amdhsa_exception_fp_ieee_inexact 0
		.amdhsa_exception_int_div_zero 0
	.end_amdhsa_kernel
	.section	.text._ZN9rocsparseL14coo2csr_kernelILj512EliEEvT1_T0_PKS1_PS2_21rocsparse_index_base_,"axG",@progbits,_ZN9rocsparseL14coo2csr_kernelILj512EliEEvT1_T0_PKS1_PS2_21rocsparse_index_base_,comdat
.Lfunc_end1:
	.size	_ZN9rocsparseL14coo2csr_kernelILj512EliEEvT1_T0_PKS1_PS2_21rocsparse_index_base_, .Lfunc_end1-_ZN9rocsparseL14coo2csr_kernelILj512EliEEvT1_T0_PKS1_PS2_21rocsparse_index_base_
                                        ; -- End function
	.section	.AMDGPU.csdata,"",@progbits
; Kernel info:
; codeLenInByte = 416
; NumSgprs: 18
; NumVgprs: 11
; ScratchSize: 0
; MemoryBound: 0
; FloatMode: 240
; IeeeMode: 1
; LDSByteSize: 0 bytes/workgroup (compile time only)
; SGPRBlocks: 2
; VGPRBlocks: 1
; NumSGPRsForWavesPerEU: 18
; NumVGPRsForWavesPerEU: 11
; Occupancy: 16
; WaveLimiterHint : 0
; COMPUTE_PGM_RSRC2:SCRATCH_EN: 0
; COMPUTE_PGM_RSRC2:USER_SGPR: 15
; COMPUTE_PGM_RSRC2:TRAP_HANDLER: 0
; COMPUTE_PGM_RSRC2:TGID_X_EN: 1
; COMPUTE_PGM_RSRC2:TGID_Y_EN: 0
; COMPUTE_PGM_RSRC2:TGID_Z_EN: 0
; COMPUTE_PGM_RSRC2:TIDIG_COMP_CNT: 0
	.section	.text._ZN9rocsparseL14coo2csr_kernelILj512EilEEvT1_T0_PKS1_PS2_21rocsparse_index_base_,"axG",@progbits,_ZN9rocsparseL14coo2csr_kernelILj512EilEEvT1_T0_PKS1_PS2_21rocsparse_index_base_,comdat
	.globl	_ZN9rocsparseL14coo2csr_kernelILj512EilEEvT1_T0_PKS1_PS2_21rocsparse_index_base_ ; -- Begin function _ZN9rocsparseL14coo2csr_kernelILj512EilEEvT1_T0_PKS1_PS2_21rocsparse_index_base_
	.p2align	8
	.type	_ZN9rocsparseL14coo2csr_kernelILj512EilEEvT1_T0_PKS1_PS2_21rocsparse_index_base_,@function
_ZN9rocsparseL14coo2csr_kernelILj512EilEEvT1_T0_PKS1_PS2_21rocsparse_index_base_: ; @_ZN9rocsparseL14coo2csr_kernelILj512EilEEvT1_T0_PKS1_PS2_21rocsparse_index_base_
; %bb.0:
	s_load_b64 s[2:3], s[0:1], 0x0
	v_lshl_or_b32 v0, s15, 9, v0
	v_mov_b32_e32 v1, 0
	s_mov_b32 s4, exec_lo
	s_waitcnt lgkmcnt(0)
	s_delay_alu instid0(VALU_DEP_1)
	v_cmpx_gt_i64_e64 s[2:3], v[0:1]
	s_cbranch_execz .LBB2_11
; %bb.1:
	s_clause 0x2
	s_load_b32 s8, s[0:1], 0x8
	s_load_b128 s[4:7], s[0:1], 0x10
	s_load_b32 s0, s[0:1], 0x20
	s_mov_b32 s1, exec_lo
                                        ; implicit-def: $vgpr2
	v_cmpx_ne_u32_e32 0, v0
	s_xor_b32 s1, exec_lo, s1
	s_cbranch_execz .LBB2_8
; %bb.2:
	s_waitcnt lgkmcnt(0)
	s_cmp_lt_i32 s8, 1
	s_cbranch_scc1 .LBB2_6
; %bb.3:
	v_add_co_u32 v2, s9, s0, v0
	s_delay_alu instid0(VALU_DEP_1)
	v_add_co_ci_u32_e64 v3, null, 0, 0, s9
	v_dual_mov_b32 v4, 0 :: v_dual_mov_b32 v5, s8
	s_mov_b32 s9, 0
	.p2align	6
.LBB2_4:                                ; =>This Inner Loop Header: Depth=1
	s_delay_alu instid0(VALU_DEP_1) | instskip(NEXT) | instid1(VALU_DEP_1)
	v_sub_nc_u32_e32 v6, v5, v4
	v_ashrrev_i32_e32 v6, 1, v6
	s_delay_alu instid0(VALU_DEP_1) | instskip(NEXT) | instid1(VALU_DEP_1)
	v_add_nc_u32_e32 v6, v6, v4
	v_ashrrev_i32_e32 v7, 31, v6
	s_delay_alu instid0(VALU_DEP_1) | instskip(NEXT) | instid1(VALU_DEP_1)
	v_lshlrev_b64 v[7:8], 3, v[6:7]
	v_add_co_u32 v7, vcc_lo, s4, v7
	s_delay_alu instid0(VALU_DEP_2) | instskip(SKIP_4) | instid1(VALU_DEP_1)
	v_add_co_ci_u32_e32 v8, vcc_lo, s5, v8, vcc_lo
	global_load_b64 v[7:8], v[7:8], off
	s_waitcnt vmcnt(0)
	v_cmp_lt_i64_e32 vcc_lo, v[7:8], v[2:3]
	v_add_nc_u32_e32 v7, 1, v6
	v_dual_cndmask_b32 v5, v6, v5 :: v_dual_cndmask_b32 v4, v4, v7
	s_delay_alu instid0(VALU_DEP_1) | instskip(SKIP_1) | instid1(SALU_CYCLE_1)
	v_cmp_ge_i32_e32 vcc_lo, v4, v5
	s_or_b32 s9, vcc_lo, s9
	s_and_not1_b32 exec_lo, exec_lo, s9
	s_cbranch_execnz .LBB2_4
; %bb.5:
	s_or_b32 exec_lo, exec_lo, s9
	s_branch .LBB2_7
.LBB2_6:
	v_mov_b32_e32 v4, 0
.LBB2_7:
	s_delay_alu instid0(VALU_DEP_1)
	v_add_nc_u32_e32 v2, s0, v4
.LBB2_8:
	s_and_not1_saveexec_b32 s1, s1
	s_cbranch_execz .LBB2_10
; %bb.9:
	s_waitcnt lgkmcnt(0)
	v_dual_mov_b32 v3, 0 :: v_dual_mov_b32 v4, s0
	s_add_i32 s0, s0, s8
	v_dual_mov_b32 v0, s2 :: v_dual_mov_b32 v1, s3
	v_mov_b32_e32 v2, s0
	global_store_b32 v3, v4, s[6:7]
.LBB2_10:
	s_or_b32 exec_lo, exec_lo, s1
	v_lshlrev_b64 v[0:1], 2, v[0:1]
	s_waitcnt lgkmcnt(0)
	s_delay_alu instid0(VALU_DEP_1) | instskip(NEXT) | instid1(VALU_DEP_2)
	v_add_co_u32 v0, vcc_lo, s6, v0
	v_add_co_ci_u32_e32 v1, vcc_lo, s7, v1, vcc_lo
	global_store_b32 v[0:1], v2, off
.LBB2_11:
	s_nop 0
	s_sendmsg sendmsg(MSG_DEALLOC_VGPRS)
	s_endpgm
	.section	.rodata,"a",@progbits
	.p2align	6, 0x0
	.amdhsa_kernel _ZN9rocsparseL14coo2csr_kernelILj512EilEEvT1_T0_PKS1_PS2_21rocsparse_index_base_
		.amdhsa_group_segment_fixed_size 0
		.amdhsa_private_segment_fixed_size 0
		.amdhsa_kernarg_size 36
		.amdhsa_user_sgpr_count 15
		.amdhsa_user_sgpr_dispatch_ptr 0
		.amdhsa_user_sgpr_queue_ptr 0
		.amdhsa_user_sgpr_kernarg_segment_ptr 1
		.amdhsa_user_sgpr_dispatch_id 0
		.amdhsa_user_sgpr_private_segment_size 0
		.amdhsa_wavefront_size32 1
		.amdhsa_uses_dynamic_stack 0
		.amdhsa_enable_private_segment 0
		.amdhsa_system_sgpr_workgroup_id_x 1
		.amdhsa_system_sgpr_workgroup_id_y 0
		.amdhsa_system_sgpr_workgroup_id_z 0
		.amdhsa_system_sgpr_workgroup_info 0
		.amdhsa_system_vgpr_workitem_id 0
		.amdhsa_next_free_vgpr 9
		.amdhsa_next_free_sgpr 16
		.amdhsa_reserve_vcc 1
		.amdhsa_float_round_mode_32 0
		.amdhsa_float_round_mode_16_64 0
		.amdhsa_float_denorm_mode_32 3
		.amdhsa_float_denorm_mode_16_64 3
		.amdhsa_dx10_clamp 1
		.amdhsa_ieee_mode 1
		.amdhsa_fp16_overflow 0
		.amdhsa_workgroup_processor_mode 1
		.amdhsa_memory_ordered 1
		.amdhsa_forward_progress 0
		.amdhsa_shared_vgpr_count 0
		.amdhsa_exception_fp_ieee_invalid_op 0
		.amdhsa_exception_fp_denorm_src 0
		.amdhsa_exception_fp_ieee_div_zero 0
		.amdhsa_exception_fp_ieee_overflow 0
		.amdhsa_exception_fp_ieee_underflow 0
		.amdhsa_exception_fp_ieee_inexact 0
		.amdhsa_exception_int_div_zero 0
	.end_amdhsa_kernel
	.section	.text._ZN9rocsparseL14coo2csr_kernelILj512EilEEvT1_T0_PKS1_PS2_21rocsparse_index_base_,"axG",@progbits,_ZN9rocsparseL14coo2csr_kernelILj512EilEEvT1_T0_PKS1_PS2_21rocsparse_index_base_,comdat
.Lfunc_end2:
	.size	_ZN9rocsparseL14coo2csr_kernelILj512EilEEvT1_T0_PKS1_PS2_21rocsparse_index_base_, .Lfunc_end2-_ZN9rocsparseL14coo2csr_kernelILj512EilEEvT1_T0_PKS1_PS2_21rocsparse_index_base_
                                        ; -- End function
	.section	.AMDGPU.csdata,"",@progbits
; Kernel info:
; codeLenInByte = 348
; NumSgprs: 18
; NumVgprs: 9
; ScratchSize: 0
; MemoryBound: 0
; FloatMode: 240
; IeeeMode: 1
; LDSByteSize: 0 bytes/workgroup (compile time only)
; SGPRBlocks: 2
; VGPRBlocks: 1
; NumSGPRsForWavesPerEU: 18
; NumVGPRsForWavesPerEU: 9
; Occupancy: 16
; WaveLimiterHint : 0
; COMPUTE_PGM_RSRC2:SCRATCH_EN: 0
; COMPUTE_PGM_RSRC2:USER_SGPR: 15
; COMPUTE_PGM_RSRC2:TRAP_HANDLER: 0
; COMPUTE_PGM_RSRC2:TGID_X_EN: 1
; COMPUTE_PGM_RSRC2:TGID_Y_EN: 0
; COMPUTE_PGM_RSRC2:TGID_Z_EN: 0
; COMPUTE_PGM_RSRC2:TIDIG_COMP_CNT: 0
	.section	.text._ZN9rocsparseL14coo2csr_kernelILj512EllEEvT1_T0_PKS1_PS2_21rocsparse_index_base_,"axG",@progbits,_ZN9rocsparseL14coo2csr_kernelILj512EllEEvT1_T0_PKS1_PS2_21rocsparse_index_base_,comdat
	.globl	_ZN9rocsparseL14coo2csr_kernelILj512EllEEvT1_T0_PKS1_PS2_21rocsparse_index_base_ ; -- Begin function _ZN9rocsparseL14coo2csr_kernelILj512EllEEvT1_T0_PKS1_PS2_21rocsparse_index_base_
	.p2align	8
	.type	_ZN9rocsparseL14coo2csr_kernelILj512EllEEvT1_T0_PKS1_PS2_21rocsparse_index_base_,@function
_ZN9rocsparseL14coo2csr_kernelILj512EllEEvT1_T0_PKS1_PS2_21rocsparse_index_base_: ; @_ZN9rocsparseL14coo2csr_kernelILj512EllEEvT1_T0_PKS1_PS2_21rocsparse_index_base_
; %bb.0:
	s_load_b256 s[4:11], s[0:1], 0x0
	v_lshl_or_b32 v0, s15, 9, v0
	v_mov_b32_e32 v1, 0
	s_mov_b32 s2, exec_lo
	s_waitcnt lgkmcnt(0)
	s_delay_alu instid0(VALU_DEP_1)
	v_cmpx_gt_i64_e64 s[4:5], v[0:1]
	s_cbranch_execz .LBB3_11
; %bb.1:
	s_load_b32 s2, s[0:1], 0x20
	s_mov_b32 s3, 0
                                        ; implicit-def: $vgpr2_vgpr3
	s_mov_b32 s0, exec_lo
	v_cmpx_ne_u32_e32 0, v0
	s_xor_b32 s1, exec_lo, s0
	s_cbranch_execz .LBB3_8
; %bb.2:
	v_cmp_lt_i64_e64 s0, s[6:7], 1
	s_delay_alu instid0(VALU_DEP_1)
	s_and_b32 vcc_lo, exec_lo, s0
	s_cbranch_vccnz .LBB3_6
; %bb.3:
	s_waitcnt lgkmcnt(0)
	v_add_co_u32 v4, s0, s2, v0
	v_mov_b32_e32 v2, 0
	v_dual_mov_b32 v3, 0 :: v_dual_mov_b32 v6, s6
	v_add_co_ci_u32_e64 v5, null, 0, 0, s0
	v_mov_b32_e32 v7, s7
	s_mov_b32 s12, 0
	.p2align	6
.LBB3_4:                                ; =>This Inner Loop Header: Depth=1
	s_delay_alu instid0(VALU_DEP_3) | instskip(NEXT) | instid1(VALU_DEP_2)
	v_sub_co_u32 v8, vcc_lo, v6, v2
	v_sub_co_ci_u32_e32 v9, vcc_lo, v7, v3, vcc_lo
	s_delay_alu instid0(VALU_DEP_1) | instskip(NEXT) | instid1(VALU_DEP_1)
	v_ashrrev_i64 v[8:9], 1, v[8:9]
	v_add_co_u32 v8, vcc_lo, v8, v2
	s_delay_alu instid0(VALU_DEP_2) | instskip(NEXT) | instid1(VALU_DEP_1)
	v_add_co_ci_u32_e32 v9, vcc_lo, v9, v3, vcc_lo
	v_lshlrev_b64 v[10:11], 3, v[8:9]
	s_delay_alu instid0(VALU_DEP_1) | instskip(NEXT) | instid1(VALU_DEP_2)
	v_add_co_u32 v10, vcc_lo, s8, v10
	v_add_co_ci_u32_e32 v11, vcc_lo, s9, v11, vcc_lo
	v_add_co_u32 v12, vcc_lo, v8, 1
	global_load_b64 v[10:11], v[10:11], off
	s_waitcnt vmcnt(0)
	v_cmp_lt_i64_e64 s0, v[10:11], v[4:5]
	v_add_co_ci_u32_e32 v10, vcc_lo, 0, v9, vcc_lo
	s_delay_alu instid0(VALU_DEP_2) | instskip(SKIP_1) | instid1(VALU_DEP_3)
	v_cndmask_b32_e64 v7, v9, v7, s0
	v_cndmask_b32_e64 v6, v8, v6, s0
	;; [unrolled: 1-line block ×4, first 2 shown]
	s_delay_alu instid0(VALU_DEP_1) | instskip(SKIP_1) | instid1(SALU_CYCLE_1)
	v_cmp_ge_i64_e32 vcc_lo, v[2:3], v[6:7]
	s_or_b32 s12, vcc_lo, s12
	s_and_not1_b32 exec_lo, exec_lo, s12
	s_cbranch_execnz .LBB3_4
; %bb.5:
	s_or_b32 exec_lo, exec_lo, s12
	s_branch .LBB3_7
.LBB3_6:
	v_mov_b32_e32 v2, 0
	v_mov_b32_e32 v3, 0
.LBB3_7:
	s_waitcnt lgkmcnt(0)
	s_delay_alu instid0(VALU_DEP_2) | instskip(NEXT) | instid1(VALU_DEP_2)
	v_add_co_u32 v2, vcc_lo, v2, s2
	v_add_co_ci_u32_e32 v3, vcc_lo, 0, v3, vcc_lo
.LBB3_8:
	s_and_not1_saveexec_b32 s0, s1
	s_cbranch_execz .LBB3_10
; %bb.9:
	s_waitcnt lgkmcnt(0)
	v_dual_mov_b32 v6, 0 :: v_dual_mov_b32 v5, s3
	v_mov_b32_e32 v4, s2
	s_add_u32 s2, s2, s6
	s_addc_u32 s3, 0, s7
	v_mov_b32_e32 v0, s4
	v_dual_mov_b32 v2, s2 :: v_dual_mov_b32 v3, s3
	v_mov_b32_e32 v1, s5
	global_store_b64 v6, v[4:5], s[10:11]
.LBB3_10:
	s_or_b32 exec_lo, exec_lo, s0
	v_lshlrev_b64 v[0:1], 3, v[0:1]
	s_delay_alu instid0(VALU_DEP_1) | instskip(NEXT) | instid1(VALU_DEP_2)
	v_add_co_u32 v0, vcc_lo, s10, v0
	v_add_co_ci_u32_e32 v1, vcc_lo, s11, v1, vcc_lo
	global_store_b64 v[0:1], v[2:3], off
.LBB3_11:
	s_nop 0
	s_sendmsg sendmsg(MSG_DEALLOC_VGPRS)
	s_endpgm
	.section	.rodata,"a",@progbits
	.p2align	6, 0x0
	.amdhsa_kernel _ZN9rocsparseL14coo2csr_kernelILj512EllEEvT1_T0_PKS1_PS2_21rocsparse_index_base_
		.amdhsa_group_segment_fixed_size 0
		.amdhsa_private_segment_fixed_size 0
		.amdhsa_kernarg_size 36
		.amdhsa_user_sgpr_count 15
		.amdhsa_user_sgpr_dispatch_ptr 0
		.amdhsa_user_sgpr_queue_ptr 0
		.amdhsa_user_sgpr_kernarg_segment_ptr 1
		.amdhsa_user_sgpr_dispatch_id 0
		.amdhsa_user_sgpr_private_segment_size 0
		.amdhsa_wavefront_size32 1
		.amdhsa_uses_dynamic_stack 0
		.amdhsa_enable_private_segment 0
		.amdhsa_system_sgpr_workgroup_id_x 1
		.amdhsa_system_sgpr_workgroup_id_y 0
		.amdhsa_system_sgpr_workgroup_id_z 0
		.amdhsa_system_sgpr_workgroup_info 0
		.amdhsa_system_vgpr_workitem_id 0
		.amdhsa_next_free_vgpr 13
		.amdhsa_next_free_sgpr 16
		.amdhsa_reserve_vcc 1
		.amdhsa_float_round_mode_32 0
		.amdhsa_float_round_mode_16_64 0
		.amdhsa_float_denorm_mode_32 3
		.amdhsa_float_denorm_mode_16_64 3
		.amdhsa_dx10_clamp 1
		.amdhsa_ieee_mode 1
		.amdhsa_fp16_overflow 0
		.amdhsa_workgroup_processor_mode 1
		.amdhsa_memory_ordered 1
		.amdhsa_forward_progress 0
		.amdhsa_shared_vgpr_count 0
		.amdhsa_exception_fp_ieee_invalid_op 0
		.amdhsa_exception_fp_denorm_src 0
		.amdhsa_exception_fp_ieee_div_zero 0
		.amdhsa_exception_fp_ieee_overflow 0
		.amdhsa_exception_fp_ieee_underflow 0
		.amdhsa_exception_fp_ieee_inexact 0
		.amdhsa_exception_int_div_zero 0
	.end_amdhsa_kernel
	.section	.text._ZN9rocsparseL14coo2csr_kernelILj512EllEEvT1_T0_PKS1_PS2_21rocsparse_index_base_,"axG",@progbits,_ZN9rocsparseL14coo2csr_kernelILj512EllEEvT1_T0_PKS1_PS2_21rocsparse_index_base_,comdat
.Lfunc_end3:
	.size	_ZN9rocsparseL14coo2csr_kernelILj512EllEEvT1_T0_PKS1_PS2_21rocsparse_index_base_, .Lfunc_end3-_ZN9rocsparseL14coo2csr_kernelILj512EllEEvT1_T0_PKS1_PS2_21rocsparse_index_base_
                                        ; -- End function
	.section	.AMDGPU.csdata,"",@progbits
; Kernel info:
; codeLenInByte = 428
; NumSgprs: 18
; NumVgprs: 13
; ScratchSize: 0
; MemoryBound: 0
; FloatMode: 240
; IeeeMode: 1
; LDSByteSize: 0 bytes/workgroup (compile time only)
; SGPRBlocks: 2
; VGPRBlocks: 1
; NumSGPRsForWavesPerEU: 18
; NumVGPRsForWavesPerEU: 13
; Occupancy: 16
; WaveLimiterHint : 0
; COMPUTE_PGM_RSRC2:SCRATCH_EN: 0
; COMPUTE_PGM_RSRC2:USER_SGPR: 15
; COMPUTE_PGM_RSRC2:TRAP_HANDLER: 0
; COMPUTE_PGM_RSRC2:TGID_X_EN: 1
; COMPUTE_PGM_RSRC2:TGID_Y_EN: 0
; COMPUTE_PGM_RSRC2:TGID_Z_EN: 0
; COMPUTE_PGM_RSRC2:TIDIG_COMP_CNT: 0
	.text
	.p2alignl 7, 3214868480
	.fill 96, 4, 3214868480
	.type	__hip_cuid_3a9d59f60eaed38c,@object ; @__hip_cuid_3a9d59f60eaed38c
	.section	.bss,"aw",@nobits
	.globl	__hip_cuid_3a9d59f60eaed38c
__hip_cuid_3a9d59f60eaed38c:
	.byte	0                               ; 0x0
	.size	__hip_cuid_3a9d59f60eaed38c, 1

	.ident	"AMD clang version 19.0.0git (https://github.com/RadeonOpenCompute/llvm-project roc-6.4.0 25133 c7fe45cf4b819c5991fe208aaa96edf142730f1d)"
	.section	".note.GNU-stack","",@progbits
	.addrsig
	.addrsig_sym __hip_cuid_3a9d59f60eaed38c
	.amdgpu_metadata
---
amdhsa.kernels:
  - .args:
      - .offset:         0
        .size:           4
        .value_kind:     by_value
      - .offset:         4
        .size:           4
        .value_kind:     by_value
      - .address_space:  global
        .offset:         8
        .size:           8
        .value_kind:     global_buffer
      - .address_space:  global
        .offset:         16
        .size:           8
        .value_kind:     global_buffer
      - .offset:         24
        .size:           4
        .value_kind:     by_value
    .group_segment_fixed_size: 0
    .kernarg_segment_align: 8
    .kernarg_segment_size: 28
    .language:       OpenCL C
    .language_version:
      - 2
      - 0
    .max_flat_workgroup_size: 512
    .name:           _ZN9rocsparseL14coo2csr_kernelILj512EiiEEvT1_T0_PKS1_PS2_21rocsparse_index_base_
    .private_segment_fixed_size: 0
    .sgpr_count:     18
    .sgpr_spill_count: 0
    .symbol:         _ZN9rocsparseL14coo2csr_kernelILj512EiiEEvT1_T0_PKS1_PS2_21rocsparse_index_base_.kd
    .uniform_work_group_size: 1
    .uses_dynamic_stack: false
    .vgpr_count:     7
    .vgpr_spill_count: 0
    .wavefront_size: 32
    .workgroup_processor_mode: 1
  - .args:
      - .offset:         0
        .size:           4
        .value_kind:     by_value
      - .offset:         8
        .size:           8
        .value_kind:     by_value
      - .address_space:  global
        .offset:         16
        .size:           8
        .value_kind:     global_buffer
      - .address_space:  global
        .offset:         24
        .size:           8
        .value_kind:     global_buffer
      - .offset:         32
        .size:           4
        .value_kind:     by_value
    .group_segment_fixed_size: 0
    .kernarg_segment_align: 8
    .kernarg_segment_size: 36
    .language:       OpenCL C
    .language_version:
      - 2
      - 0
    .max_flat_workgroup_size: 512
    .name:           _ZN9rocsparseL14coo2csr_kernelILj512EliEEvT1_T0_PKS1_PS2_21rocsparse_index_base_
    .private_segment_fixed_size: 0
    .sgpr_count:     18
    .sgpr_spill_count: 0
    .symbol:         _ZN9rocsparseL14coo2csr_kernelILj512EliEEvT1_T0_PKS1_PS2_21rocsparse_index_base_.kd
    .uniform_work_group_size: 1
    .uses_dynamic_stack: false
    .vgpr_count:     11
    .vgpr_spill_count: 0
    .wavefront_size: 32
    .workgroup_processor_mode: 1
  - .args:
      - .offset:         0
        .size:           8
        .value_kind:     by_value
      - .offset:         8
        .size:           4
        .value_kind:     by_value
      - .address_space:  global
        .offset:         16
        .size:           8
        .value_kind:     global_buffer
      - .address_space:  global
        .offset:         24
        .size:           8
        .value_kind:     global_buffer
      - .offset:         32
        .size:           4
        .value_kind:     by_value
    .group_segment_fixed_size: 0
    .kernarg_segment_align: 8
    .kernarg_segment_size: 36
    .language:       OpenCL C
    .language_version:
      - 2
      - 0
    .max_flat_workgroup_size: 512
    .name:           _ZN9rocsparseL14coo2csr_kernelILj512EilEEvT1_T0_PKS1_PS2_21rocsparse_index_base_
    .private_segment_fixed_size: 0
    .sgpr_count:     18
    .sgpr_spill_count: 0
    .symbol:         _ZN9rocsparseL14coo2csr_kernelILj512EilEEvT1_T0_PKS1_PS2_21rocsparse_index_base_.kd
    .uniform_work_group_size: 1
    .uses_dynamic_stack: false
    .vgpr_count:     9
    .vgpr_spill_count: 0
    .wavefront_size: 32
    .workgroup_processor_mode: 1
  - .args:
      - .offset:         0
        .size:           8
        .value_kind:     by_value
      - .offset:         8
        .size:           8
        .value_kind:     by_value
      - .address_space:  global
        .offset:         16
        .size:           8
        .value_kind:     global_buffer
      - .address_space:  global
        .offset:         24
        .size:           8
        .value_kind:     global_buffer
      - .offset:         32
        .size:           4
        .value_kind:     by_value
    .group_segment_fixed_size: 0
    .kernarg_segment_align: 8
    .kernarg_segment_size: 36
    .language:       OpenCL C
    .language_version:
      - 2
      - 0
    .max_flat_workgroup_size: 512
    .name:           _ZN9rocsparseL14coo2csr_kernelILj512EllEEvT1_T0_PKS1_PS2_21rocsparse_index_base_
    .private_segment_fixed_size: 0
    .sgpr_count:     18
    .sgpr_spill_count: 0
    .symbol:         _ZN9rocsparseL14coo2csr_kernelILj512EllEEvT1_T0_PKS1_PS2_21rocsparse_index_base_.kd
    .uniform_work_group_size: 1
    .uses_dynamic_stack: false
    .vgpr_count:     13
    .vgpr_spill_count: 0
    .wavefront_size: 32
    .workgroup_processor_mode: 1
amdhsa.target:   amdgcn-amd-amdhsa--gfx1100
amdhsa.version:
  - 1
  - 2
...

	.end_amdgpu_metadata
